;; amdgpu-corpus repo=ROCm/rocFFT kind=compiled arch=gfx1100 opt=O3
	.text
	.amdgcn_target "amdgcn-amd-amdhsa--gfx1100"
	.amdhsa_code_object_version 6
	.protected	fft_rtc_back_len4096_factors_16_16_16_wgs_256_tpt_256_halfLds_sp_op_CI_CI_unitstride_sbrr_R2C_dirReg ; -- Begin function fft_rtc_back_len4096_factors_16_16_16_wgs_256_tpt_256_halfLds_sp_op_CI_CI_unitstride_sbrr_R2C_dirReg
	.globl	fft_rtc_back_len4096_factors_16_16_16_wgs_256_tpt_256_halfLds_sp_op_CI_CI_unitstride_sbrr_R2C_dirReg
	.p2align	8
	.type	fft_rtc_back_len4096_factors_16_16_16_wgs_256_tpt_256_halfLds_sp_op_CI_CI_unitstride_sbrr_R2C_dirReg,@function
fft_rtc_back_len4096_factors_16_16_16_wgs_256_tpt_256_halfLds_sp_op_CI_CI_unitstride_sbrr_R2C_dirReg: ; @fft_rtc_back_len4096_factors_16_16_16_wgs_256_tpt_256_halfLds_sp_op_CI_CI_unitstride_sbrr_R2C_dirReg
; %bb.0:
	s_clause 0x2
	s_load_b128 s[8:11], s[0:1], 0x0
	s_load_b128 s[4:7], s[0:1], 0x58
	;; [unrolled: 1-line block ×3, first 2 shown]
	v_mov_b32_e32 v4, 0
	v_mov_b32_e32 v14, 0
	v_dual_mov_b32 v15, 0 :: v_dual_mov_b32 v8, s15
	s_delay_alu instid0(VALU_DEP_3) | instskip(SKIP_2) | instid1(VALU_DEP_1)
	v_mov_b32_e32 v9, v4
	s_waitcnt lgkmcnt(0)
	v_cmp_lt_u64_e64 s2, s[10:11], 2
	s_and_b32 vcc_lo, exec_lo, s2
	s_cbranch_vccnz .LBB0_8
; %bb.1:
	s_load_b64 s[2:3], s[0:1], 0x10
	v_mov_b32_e32 v14, 0
	v_mov_b32_e32 v15, 0
	s_add_u32 s12, s18, 8
	s_addc_u32 s13, s19, 0
	s_add_u32 s14, s16, 8
	s_delay_alu instid0(VALU_DEP_1)
	v_dual_mov_b32 v2, v14 :: v_dual_mov_b32 v3, v15
	s_addc_u32 s15, s17, 0
	s_mov_b64 s[22:23], 1
	s_waitcnt lgkmcnt(0)
	s_add_u32 s20, s2, 8
	s_addc_u32 s21, s3, 0
.LBB0_2:                                ; =>This Inner Loop Header: Depth=1
	s_load_b64 s[24:25], s[20:21], 0x0
                                        ; implicit-def: $vgpr6_vgpr7
	s_mov_b32 s2, exec_lo
	s_waitcnt lgkmcnt(0)
	v_or_b32_e32 v5, s25, v9
	s_delay_alu instid0(VALU_DEP_1)
	v_cmpx_ne_u64_e32 0, v[4:5]
	s_xor_b32 s3, exec_lo, s2
	s_cbranch_execz .LBB0_4
; %bb.3:                                ;   in Loop: Header=BB0_2 Depth=1
	v_cvt_f32_u32_e32 v1, s24
	v_cvt_f32_u32_e32 v5, s25
	s_sub_u32 s2, 0, s24
	s_subb_u32 s26, 0, s25
	s_delay_alu instid0(VALU_DEP_1) | instskip(NEXT) | instid1(VALU_DEP_1)
	v_fmac_f32_e32 v1, 0x4f800000, v5
	v_rcp_f32_e32 v1, v1
	s_waitcnt_depctr 0xfff
	v_mul_f32_e32 v1, 0x5f7ffffc, v1
	s_delay_alu instid0(VALU_DEP_1) | instskip(NEXT) | instid1(VALU_DEP_1)
	v_mul_f32_e32 v5, 0x2f800000, v1
	v_trunc_f32_e32 v5, v5
	s_delay_alu instid0(VALU_DEP_1) | instskip(SKIP_1) | instid1(VALU_DEP_2)
	v_fmac_f32_e32 v1, 0xcf800000, v5
	v_cvt_u32_f32_e32 v5, v5
	v_cvt_u32_f32_e32 v1, v1
	s_delay_alu instid0(VALU_DEP_2) | instskip(NEXT) | instid1(VALU_DEP_2)
	v_mul_lo_u32 v6, s2, v5
	v_mul_hi_u32 v7, s2, v1
	v_mul_lo_u32 v10, s26, v1
	s_delay_alu instid0(VALU_DEP_2) | instskip(SKIP_1) | instid1(VALU_DEP_2)
	v_add_nc_u32_e32 v6, v7, v6
	v_mul_lo_u32 v7, s2, v1
	v_add_nc_u32_e32 v6, v6, v10
	s_delay_alu instid0(VALU_DEP_2) | instskip(NEXT) | instid1(VALU_DEP_2)
	v_mul_hi_u32 v10, v1, v7
	v_mul_lo_u32 v11, v1, v6
	v_mul_hi_u32 v12, v1, v6
	v_mul_hi_u32 v13, v5, v7
	v_mul_lo_u32 v7, v5, v7
	v_mul_hi_u32 v16, v5, v6
	v_mul_lo_u32 v6, v5, v6
	v_add_co_u32 v10, vcc_lo, v10, v11
	v_add_co_ci_u32_e32 v11, vcc_lo, 0, v12, vcc_lo
	s_delay_alu instid0(VALU_DEP_2) | instskip(NEXT) | instid1(VALU_DEP_2)
	v_add_co_u32 v7, vcc_lo, v10, v7
	v_add_co_ci_u32_e32 v7, vcc_lo, v11, v13, vcc_lo
	v_add_co_ci_u32_e32 v10, vcc_lo, 0, v16, vcc_lo
	s_delay_alu instid0(VALU_DEP_2) | instskip(NEXT) | instid1(VALU_DEP_2)
	v_add_co_u32 v6, vcc_lo, v7, v6
	v_add_co_ci_u32_e32 v7, vcc_lo, 0, v10, vcc_lo
	s_delay_alu instid0(VALU_DEP_2) | instskip(NEXT) | instid1(VALU_DEP_2)
	v_add_co_u32 v1, vcc_lo, v1, v6
	v_add_co_ci_u32_e32 v5, vcc_lo, v5, v7, vcc_lo
	s_delay_alu instid0(VALU_DEP_2) | instskip(SKIP_1) | instid1(VALU_DEP_3)
	v_mul_hi_u32 v6, s2, v1
	v_mul_lo_u32 v10, s26, v1
	v_mul_lo_u32 v7, s2, v5
	s_delay_alu instid0(VALU_DEP_1) | instskip(SKIP_1) | instid1(VALU_DEP_2)
	v_add_nc_u32_e32 v6, v6, v7
	v_mul_lo_u32 v7, s2, v1
	v_add_nc_u32_e32 v6, v6, v10
	s_delay_alu instid0(VALU_DEP_2) | instskip(NEXT) | instid1(VALU_DEP_2)
	v_mul_hi_u32 v10, v1, v7
	v_mul_lo_u32 v11, v1, v6
	v_mul_hi_u32 v12, v1, v6
	v_mul_hi_u32 v13, v5, v7
	v_mul_lo_u32 v7, v5, v7
	v_mul_hi_u32 v16, v5, v6
	v_mul_lo_u32 v6, v5, v6
	v_add_co_u32 v10, vcc_lo, v10, v11
	v_add_co_ci_u32_e32 v11, vcc_lo, 0, v12, vcc_lo
	s_delay_alu instid0(VALU_DEP_2) | instskip(NEXT) | instid1(VALU_DEP_2)
	v_add_co_u32 v7, vcc_lo, v10, v7
	v_add_co_ci_u32_e32 v7, vcc_lo, v11, v13, vcc_lo
	v_add_co_ci_u32_e32 v10, vcc_lo, 0, v16, vcc_lo
	s_delay_alu instid0(VALU_DEP_2) | instskip(NEXT) | instid1(VALU_DEP_2)
	v_add_co_u32 v6, vcc_lo, v7, v6
	v_add_co_ci_u32_e32 v7, vcc_lo, 0, v10, vcc_lo
	s_delay_alu instid0(VALU_DEP_2) | instskip(NEXT) | instid1(VALU_DEP_2)
	v_add_co_u32 v1, vcc_lo, v1, v6
	v_add_co_ci_u32_e32 v7, vcc_lo, v5, v7, vcc_lo
	s_delay_alu instid0(VALU_DEP_2) | instskip(SKIP_1) | instid1(VALU_DEP_3)
	v_mul_hi_u32 v16, v8, v1
	v_mad_u64_u32 v[10:11], null, v9, v1, 0
	v_mad_u64_u32 v[5:6], null, v8, v7, 0
	;; [unrolled: 1-line block ×3, first 2 shown]
	s_delay_alu instid0(VALU_DEP_2) | instskip(NEXT) | instid1(VALU_DEP_3)
	v_add_co_u32 v1, vcc_lo, v16, v5
	v_add_co_ci_u32_e32 v5, vcc_lo, 0, v6, vcc_lo
	s_delay_alu instid0(VALU_DEP_2) | instskip(NEXT) | instid1(VALU_DEP_2)
	v_add_co_u32 v1, vcc_lo, v1, v10
	v_add_co_ci_u32_e32 v1, vcc_lo, v5, v11, vcc_lo
	v_add_co_ci_u32_e32 v5, vcc_lo, 0, v13, vcc_lo
	s_delay_alu instid0(VALU_DEP_2) | instskip(NEXT) | instid1(VALU_DEP_2)
	v_add_co_u32 v1, vcc_lo, v1, v12
	v_add_co_ci_u32_e32 v7, vcc_lo, 0, v5, vcc_lo
	s_delay_alu instid0(VALU_DEP_2) | instskip(SKIP_1) | instid1(VALU_DEP_3)
	v_mul_lo_u32 v10, s25, v1
	v_mad_u64_u32 v[5:6], null, s24, v1, 0
	v_mul_lo_u32 v11, s24, v7
	s_delay_alu instid0(VALU_DEP_2) | instskip(NEXT) | instid1(VALU_DEP_2)
	v_sub_co_u32 v5, vcc_lo, v8, v5
	v_add3_u32 v6, v6, v11, v10
	s_delay_alu instid0(VALU_DEP_1) | instskip(NEXT) | instid1(VALU_DEP_1)
	v_sub_nc_u32_e32 v10, v9, v6
	v_subrev_co_ci_u32_e64 v10, s2, s25, v10, vcc_lo
	v_add_co_u32 v11, s2, v1, 2
	s_delay_alu instid0(VALU_DEP_1) | instskip(SKIP_3) | instid1(VALU_DEP_3)
	v_add_co_ci_u32_e64 v12, s2, 0, v7, s2
	v_sub_co_u32 v13, s2, v5, s24
	v_sub_co_ci_u32_e32 v6, vcc_lo, v9, v6, vcc_lo
	v_subrev_co_ci_u32_e64 v10, s2, 0, v10, s2
	v_cmp_le_u32_e32 vcc_lo, s24, v13
	s_delay_alu instid0(VALU_DEP_3) | instskip(SKIP_1) | instid1(VALU_DEP_4)
	v_cmp_eq_u32_e64 s2, s25, v6
	v_cndmask_b32_e64 v13, 0, -1, vcc_lo
	v_cmp_le_u32_e32 vcc_lo, s25, v10
	v_cndmask_b32_e64 v16, 0, -1, vcc_lo
	v_cmp_le_u32_e32 vcc_lo, s24, v5
	;; [unrolled: 2-line block ×3, first 2 shown]
	v_cndmask_b32_e64 v17, 0, -1, vcc_lo
	v_cmp_eq_u32_e32 vcc_lo, s25, v10
	s_delay_alu instid0(VALU_DEP_2) | instskip(SKIP_3) | instid1(VALU_DEP_3)
	v_cndmask_b32_e64 v5, v17, v5, s2
	v_cndmask_b32_e32 v10, v16, v13, vcc_lo
	v_add_co_u32 v13, vcc_lo, v1, 1
	v_add_co_ci_u32_e32 v16, vcc_lo, 0, v7, vcc_lo
	v_cmp_ne_u32_e32 vcc_lo, 0, v10
	s_delay_alu instid0(VALU_DEP_2) | instskip(NEXT) | instid1(VALU_DEP_4)
	v_cndmask_b32_e32 v6, v16, v12, vcc_lo
	v_cndmask_b32_e32 v10, v13, v11, vcc_lo
	v_cmp_ne_u32_e32 vcc_lo, 0, v5
	s_delay_alu instid0(VALU_DEP_3) | instskip(NEXT) | instid1(VALU_DEP_3)
	v_cndmask_b32_e32 v7, v7, v6, vcc_lo
	v_cndmask_b32_e32 v6, v1, v10, vcc_lo
.LBB0_4:                                ;   in Loop: Header=BB0_2 Depth=1
	s_and_not1_saveexec_b32 s2, s3
	s_cbranch_execz .LBB0_6
; %bb.5:                                ;   in Loop: Header=BB0_2 Depth=1
	v_cvt_f32_u32_e32 v1, s24
	s_sub_i32 s3, 0, s24
	s_delay_alu instid0(VALU_DEP_1) | instskip(SKIP_2) | instid1(VALU_DEP_1)
	v_rcp_iflag_f32_e32 v1, v1
	s_waitcnt_depctr 0xfff
	v_mul_f32_e32 v1, 0x4f7ffffe, v1
	v_cvt_u32_f32_e32 v1, v1
	s_delay_alu instid0(VALU_DEP_1) | instskip(NEXT) | instid1(VALU_DEP_1)
	v_mul_lo_u32 v5, s3, v1
	v_mul_hi_u32 v5, v1, v5
	s_delay_alu instid0(VALU_DEP_1) | instskip(NEXT) | instid1(VALU_DEP_1)
	v_add_nc_u32_e32 v1, v1, v5
	v_mul_hi_u32 v1, v8, v1
	s_delay_alu instid0(VALU_DEP_1) | instskip(NEXT) | instid1(VALU_DEP_1)
	v_mul_lo_u32 v5, v1, s24
	v_sub_nc_u32_e32 v5, v8, v5
	s_delay_alu instid0(VALU_DEP_1) | instskip(SKIP_1) | instid1(VALU_DEP_2)
	v_subrev_nc_u32_e32 v7, s24, v5
	v_cmp_le_u32_e32 vcc_lo, s24, v5
	v_dual_cndmask_b32 v5, v5, v7 :: v_dual_add_nc_u32 v6, 1, v1
	s_delay_alu instid0(VALU_DEP_1) | instskip(SKIP_1) | instid1(VALU_DEP_3)
	v_cndmask_b32_e32 v1, v1, v6, vcc_lo
	v_mov_b32_e32 v7, v4
	v_cmp_le_u32_e32 vcc_lo, s24, v5
	s_delay_alu instid0(VALU_DEP_3) | instskip(NEXT) | instid1(VALU_DEP_1)
	v_add_nc_u32_e32 v6, 1, v1
	v_cndmask_b32_e32 v6, v1, v6, vcc_lo
.LBB0_6:                                ;   in Loop: Header=BB0_2 Depth=1
	s_or_b32 exec_lo, exec_lo, s2
	v_mul_lo_u32 v1, v7, s24
	s_delay_alu instid0(VALU_DEP_2)
	v_mul_lo_u32 v5, v6, s25
	s_load_b64 s[2:3], s[14:15], 0x0
	v_mad_u64_u32 v[10:11], null, v6, s24, 0
	s_load_b64 s[24:25], s[12:13], 0x0
	s_add_u32 s22, s22, 1
	s_addc_u32 s23, s23, 0
	s_add_u32 s12, s12, 8
	s_addc_u32 s13, s13, 0
	s_add_u32 s14, s14, 8
	s_delay_alu instid0(VALU_DEP_1) | instskip(SKIP_3) | instid1(VALU_DEP_2)
	v_add3_u32 v1, v11, v5, v1
	v_sub_co_u32 v5, vcc_lo, v8, v10
	s_addc_u32 s15, s15, 0
	s_add_u32 s20, s20, 8
	v_sub_co_ci_u32_e32 v1, vcc_lo, v9, v1, vcc_lo
	s_addc_u32 s21, s21, 0
	s_waitcnt lgkmcnt(0)
	s_delay_alu instid0(VALU_DEP_1)
	v_mul_lo_u32 v12, s2, v1
	v_mul_lo_u32 v13, s3, v5
	v_mad_u64_u32 v[8:9], null, s2, v5, v[14:15]
	v_mul_lo_u32 v1, s24, v1
	v_mul_lo_u32 v16, s25, v5
	v_mad_u64_u32 v[10:11], null, s24, v5, v[2:3]
	v_cmp_ge_u64_e64 s2, s[22:23], s[10:11]
	v_add3_u32 v15, v13, v9, v12
	v_mov_b32_e32 v14, v8
	s_delay_alu instid0(VALU_DEP_4)
	v_add3_u32 v3, v16, v11, v1
	v_mov_b32_e32 v2, v10
	s_and_b32 vcc_lo, exec_lo, s2
	s_cbranch_vccnz .LBB0_9
; %bb.7:                                ;   in Loop: Header=BB0_2 Depth=1
	v_dual_mov_b32 v9, v7 :: v_dual_mov_b32 v8, v6
	s_branch .LBB0_2
.LBB0_8:
	v_dual_mov_b32 v2, v14 :: v_dual_mov_b32 v3, v15
	v_dual_mov_b32 v6, v8 :: v_dual_mov_b32 v7, v9
.LBB0_9:
	s_load_b64 s[0:1], s[0:1], 0x28
	s_lshl_b64 s[10:11], s[10:11], 3
	v_or_b32_e32 v4, 0x100, v0
	v_or_b32_e32 v13, 0x200, v0
	;; [unrolled: 1-line block ×15, first 2 shown]
	s_add_u32 s2, s18, s10
	s_addc_u32 s3, s19, s11
	s_waitcnt lgkmcnt(0)
	v_cmp_gt_u64_e32 vcc_lo, s[0:1], v[6:7]
	v_cmp_le_u64_e64 s0, s[0:1], v[6:7]
	s_delay_alu instid0(VALU_DEP_1) | instskip(NEXT) | instid1(SALU_CYCLE_1)
	s_and_saveexec_b32 s1, s0
	s_xor_b32 s0, exec_lo, s1
	s_cbranch_execz .LBB0_11
; %bb.10:
	v_or_b32_e32 v4, 0x100, v0
	v_or_b32_e32 v13, 0x200, v0
	;; [unrolled: 1-line block ×15, first 2 shown]
                                        ; implicit-def: $vgpr14_vgpr15
.LBB0_11:
	s_and_not1_saveexec_b32 s1, s0
	s_cbranch_execz .LBB0_13
; %bb.12:
	s_add_u32 s10, s16, s10
	s_addc_u32 s11, s17, s11
	v_lshlrev_b64 v[14:15], 3, v[14:15]
	s_load_b64 s[10:11], s[10:11], 0x0
	v_lshlrev_b32_e32 v53, 3, v12
	v_lshlrev_b32_e32 v27, 3, v11
	;; [unrolled: 1-line block ×13, first 2 shown]
	s_waitcnt lgkmcnt(0)
	v_mul_lo_u32 v16, s11, v6
	v_mul_lo_u32 v25, s10, v7
	v_mad_u64_u32 v[23:24], null, s10, v6, 0
	s_delay_alu instid0(VALU_DEP_1) | instskip(SKIP_2) | instid1(VALU_DEP_3)
	v_add3_u32 v24, v24, v25, v16
	v_lshlrev_b32_e32 v16, 3, v0
	v_lshlrev_b32_e32 v25, 3, v13
	v_lshlrev_b64 v[23:24], 3, v[23:24]
	s_delay_alu instid0(VALU_DEP_1) | instskip(NEXT) | instid1(VALU_DEP_1)
	v_add_co_u32 v23, s0, s4, v23
	v_add_co_ci_u32_e64 v24, s0, s5, v24, s0
	s_delay_alu instid0(VALU_DEP_2) | instskip(NEXT) | instid1(VALU_DEP_1)
	v_add_co_u32 v51, s0, v23, v14
	v_add_co_ci_u32_e64 v52, s0, v24, v15, s0
	s_delay_alu instid0(VALU_DEP_2) | instskip(NEXT) | instid1(VALU_DEP_1)
	v_add_co_u32 v14, s0, v51, v16
	v_add_co_ci_u32_e64 v15, s0, 0, v52, s0
	v_add_co_u32 v23, s0, v51, v25
	s_delay_alu instid0(VALU_DEP_1) | instskip(SKIP_1) | instid1(VALU_DEP_1)
	v_add_co_ci_u32_e64 v24, s0, 0, v52, s0
	v_add_co_u32 v25, s0, v51, v53
	v_add_co_ci_u32_e64 v26, s0, 0, v52, s0
	v_add_co_u32 v27, s0, v51, v27
	s_delay_alu instid0(VALU_DEP_1) | instskip(SKIP_1) | instid1(VALU_DEP_1)
	v_add_co_ci_u32_e64 v28, s0, 0, v52, s0
	;; [unrolled: 5-line block ×7, first 2 shown]
	v_add_co_u32 v51, s0, v51, v56
	v_add_co_ci_u32_e64 v52, s0, 0, v52, s0
	s_clause 0xf
	global_load_b64 v[33:34], v[14:15], off
	global_load_b64 v[14:15], v[14:15], off offset:2048
	global_load_b64 v[23:24], v[23:24], off
	global_load_b64 v[27:28], v[27:28], off
	;; [unrolled: 1-line block ×14, first 2 shown]
	v_add_nc_u32_e32 v16, 0, v16
	v_add_nc_u32_e32 v53, 0, v53
	;; [unrolled: 1-line block ×5, first 2 shown]
	s_waitcnt vmcnt(14)
	ds_store_2addr_stride64_b64 v16, v[33:34], v[14:15] offset1:4
	s_waitcnt vmcnt(12)
	ds_store_2addr_stride64_b64 v16, v[23:24], v[27:28] offset0:8 offset1:16
	s_waitcnt vmcnt(10)
	ds_store_2addr_stride64_b64 v16, v[29:30], v[31:32] offset0:20 offset1:24
	;; [unrolled: 2-line block ×5, first 2 shown]
	s_waitcnt vmcnt(3)
	ds_store_b64 v53, v[25:26]
	s_waitcnt vmcnt(2)
	ds_store_b64 v54, v[41:42]
	;; [unrolled: 2-line block ×4, first 2 shown]
.LBB0_13:
	s_or_b32 exec_lo, exec_lo, s1
	v_lshlrev_b32_e32 v23, 3, v0
	s_load_b64 s[2:3], s[2:3], 0x0
	s_waitcnt lgkmcnt(0)
	s_barrier
	buffer_gl0_inv
	v_add_nc_u32_e32 v16, 0, v23
	v_lshl_add_u32 v5, v5, 3, 0
	v_lshl_add_u32 v1, v1, 3, 0
	s_add_u32 s1, s8, 0x7f80
	s_addc_u32 s4, s9, 0
	ds_load_2addr_stride64_b64 v[24:27], v16 offset1:4
	ds_load_2addr_stride64_b64 v[28:31], v16 offset0:32 offset1:36
	ds_load_2addr_stride64_b64 v[32:35], v16 offset0:16 offset1:20
	;; [unrolled: 1-line block ×7, first 2 shown]
	s_waitcnt lgkmcnt(0)
	s_barrier
	buffer_gl0_inv
	s_mov_b32 s5, exec_lo
	v_dual_sub_f32 v15, v25, v29 :: v_dual_sub_f32 v14, v24, v28
	v_dual_sub_f32 v29, v33, v37 :: v_dual_sub_f32 v28, v32, v36
	v_dual_sub_f32 v37, v41, v45 :: v_dual_sub_f32 v36, v40, v44
	v_dual_sub_f32 v45, v49, v53 :: v_dual_sub_f32 v44, v48, v52
	v_dual_sub_f32 v31, v27, v31 :: v_dual_sub_f32 v30, v26, v30
	v_dual_sub_f32 v38, v34, v38 :: v_dual_sub_f32 v39, v35, v39
	v_fma_f32 v33, v33, 2.0, -v29
	s_delay_alu instid0(VALU_DEP_4)
	v_fma_f32 v49, v49, 2.0, -v45
	v_dual_sub_f32 v46, v42, v46 :: v_dual_sub_f32 v47, v43, v47
	v_dual_sub_f32 v52, v50, v54 :: v_dual_sub_f32 v53, v51, v55
	v_add_f32_e32 v29, v14, v29
	v_add_f32_e32 v45, v36, v45
	v_fma_f32 v24, v24, 2.0, -v14
	v_fma_f32 v25, v25, 2.0, -v15
	;; [unrolled: 1-line block ×5, first 2 shown]
	v_sub_f32_e32 v44, v37, v44
	v_fma_f32 v26, v26, 2.0, -v30
	v_fma_f32 v27, v27, 2.0, -v31
	;; [unrolled: 1-line block ×8, first 2 shown]
	v_sub_f32_e32 v28, v15, v28
	v_fma_f32 v14, v14, 2.0, -v29
	v_fma_f32 v36, v36, 2.0, -v45
	;; [unrolled: 1-line block ×3, first 2 shown]
	v_dual_sub_f32 v32, v24, v32 :: v_dual_sub_f32 v33, v25, v33
	v_sub_f32_e32 v48, v40, v48
	v_fma_f32 v15, v15, 2.0, -v28
	s_delay_alu instid0(VALU_DEP_4)
	v_dual_sub_f32 v49, v41, v49 :: v_dual_sub_f32 v34, v26, v34
	v_sub_f32_e32 v35, v27, v35
	v_fma_f32 v37, v37, 2.0, -v44
	v_dual_add_f32 v39, v30, v39 :: v_dual_sub_f32 v38, v31, v38
	v_dual_sub_f32 v50, v42, v50 :: v_dual_sub_f32 v51, v43, v51
	v_dual_add_f32 v53, v46, v53 :: v_dual_sub_f32 v52, v47, v52
	s_delay_alu instid0(VALU_DEP_4)
	v_dual_fmamk_f32 v54, v36, 0xbf3504f3, v14 :: v_dual_fmamk_f32 v57, v37, 0xbf3504f3, v15
	v_fma_f32 v27, v27, 2.0, -v35
	v_fma_f32 v30, v30, 2.0, -v39
	;; [unrolled: 1-line block ×5, first 2 shown]
	v_fmac_f32_e32 v54, 0x3f3504f3, v37
	v_fma_f32 v37, v47, 2.0, -v52
	v_dual_sub_f32 v60, v33, v48 :: v_dual_fmamk_f32 v61, v44, 0x3f3504f3, v28
	v_dual_fmamk_f32 v58, v45, 0x3f3504f3, v29 :: v_dual_add_f32 v59, v32, v49
	s_delay_alu instid0(VALU_DEP_3) | instskip(NEXT) | instid1(VALU_DEP_3)
	v_dual_fmamk_f32 v62, v37, 0xbf3504f3, v31 :: v_dual_add_f32 v51, v34, v51
	v_fmac_f32_e32 v61, 0xbf3504f3, v45
	v_fmamk_f32 v45, v46, 0xbf3504f3, v30
	v_fma_f32 v24, v24, 2.0, -v32
	v_fma_f32 v25, v25, 2.0, -v33
	;; [unrolled: 1-line block ×6, first 2 shown]
	v_sub_f32_e32 v50, v35, v50
	v_dual_fmac_f32 v58, 0x3f3504f3, v44 :: v_dual_fmac_f32 v45, 0x3f3504f3, v37
	v_dual_sub_f32 v55, v24, v40 :: v_dual_sub_f32 v56, v25, v41
	s_delay_alu instid0(VALU_DEP_4)
	v_dual_fmac_f32 v57, 0xbf3504f3, v36 :: v_dual_sub_f32 v42, v26, v42
	v_dual_sub_f32 v43, v27, v43 :: v_dual_fmac_f32 v62, 0xbf3504f3, v46
	v_dual_fmamk_f32 v63, v53, 0x3f3504f3, v39 :: v_dual_fmamk_f32 v64, v52, 0x3f3504f3, v38
	v_fma_f32 v36, v14, 2.0, -v54
	v_fma_f32 v30, v30, 2.0, -v45
	;; [unrolled: 1-line block ×10, first 2 shown]
	v_fmac_f32_e32 v63, 0x3f3504f3, v52
	v_fma_f32 v33, v35, 2.0, -v50
	v_sub_f32_e32 v14, v40, v14
	v_dual_fmac_f32 v64, 0xbf3504f3, v53 :: v_dual_sub_f32 v15, v41, v15
	v_fma_f32 v44, v32, 2.0, -v59
	v_fma_f32 v31, v34, 2.0, -v51
	v_dual_fmamk_f32 v24, v30, 0xbf6c835e, v36 :: v_dual_fmamk_f32 v25, v28, 0xbf6c835e, v47
	v_fma_f32 v49, v29, 2.0, -v58
	v_fma_f32 v39, v39, 2.0, -v63
	;; [unrolled: 1-line block ×3, first 2 shown]
	v_dual_fmamk_f32 v29, v33, 0xbf3504f3, v48 :: v_dual_add_f32 v38, v55, v43
	v_fmac_f32_e32 v24, 0x3ec3ef15, v28
	v_fmamk_f32 v28, v31, 0xbf3504f3, v44
	v_fma_f32 v26, v40, 2.0, -v14
	s_delay_alu instid0(VALU_DEP_4)
	v_fmac_f32_e32 v29, 0xbf3504f3, v31
	v_fmac_f32_e32 v25, 0xbec3ef15, v30
	v_fmamk_f32 v30, v39, 0xbec3ef15, v49
	v_fmamk_f32 v31, v34, 0xbec3ef15, v37
	;; [unrolled: 1-line block ×3, first 2 shown]
	v_fma_f32 v27, v41, 2.0, -v15
	v_fmamk_f32 v41, v62, 0x3ec3ef15, v57
	v_fmac_f32_e32 v28, 0x3f3504f3, v33
	v_fma_f32 v33, v47, 2.0, -v25
	v_fmac_f32_e32 v31, 0xbf6c835e, v39
	v_sub_f32_e32 v39, v56, v42
	v_fma_f32 v42, v55, 2.0, -v38
	v_dual_fmac_f32 v40, 0x3f6c835e, v62 :: v_dual_fmamk_f32 v47, v64, 0x3f6c835e, v61
	v_dual_fmac_f32 v30, 0x3f6c835e, v34 :: v_dual_and_b32 v55, 15, v0
	v_fma_f32 v34, v44, 2.0, -v28
	v_fmac_f32_e32 v41, 0xbf6c835e, v45
	v_dual_fmamk_f32 v44, v51, 0x3f3504f3, v59 :: v_dual_fmamk_f32 v45, v50, 0x3f3504f3, v60
	v_fmamk_f32 v46, v63, 0x3f6c835e, v58
	v_fma_f32 v32, v36, 2.0, -v24
	v_fma_f32 v35, v48, 2.0, -v29
	;; [unrolled: 1-line block ×3, first 2 shown]
	v_fmac_f32_e32 v47, 0xbec3ef15, v63
	v_mad_u32_u24 v54, 0x78, v0, v16
	v_fma_f32 v36, v49, 2.0, -v30
	v_fma_f32 v37, v37, 2.0, -v31
	v_fmac_f32_e32 v44, 0x3f3504f3, v50
	v_fmac_f32_e32 v45, 0xbf3504f3, v51
	;; [unrolled: 1-line block ×3, first 2 shown]
	v_fma_f32 v43, v56, 2.0, -v39
	v_fma_f32 v49, v57, 2.0, -v41
	;; [unrolled: 1-line block ×3, first 2 shown]
	ds_store_2addr_b64 v54, v[26:27], v[32:33] offset1:1
	ds_store_2addr_b64 v54, v[34:35], v[36:37] offset0:2 offset1:3
	v_mul_u32_u24_e32 v26, 15, v55
	v_mul_u32_u24_e32 v61, 15, v0
	v_fma_f32 v50, v59, 2.0, -v44
	v_fma_f32 v51, v60, 2.0, -v45
	v_fma_f32 v52, v58, 2.0, -v46
	v_lshl_or_b32 v60, v0, 4, v0
	v_lshlrev_b32_e32 v80, 3, v61
	ds_store_2addr_b64 v54, v[42:43], v[48:49] offset0:4 offset1:5
	ds_store_2addr_b64 v54, v[50:51], v[52:53] offset0:6 offset1:7
	ds_store_2addr_b64 v54, v[14:15], v[24:25] offset0:8 offset1:9
	ds_store_2addr_b64 v54, v[28:29], v[30:31] offset0:10 offset1:11
	v_lshlrev_b32_e32 v14, 3, v26
	ds_store_2addr_b64 v54, v[38:39], v[40:41] offset0:12 offset1:13
	ds_store_2addr_b64 v54, v[44:45], v[46:47] offset0:14 offset1:15
	s_waitcnt lgkmcnt(0)
	s_barrier
	buffer_gl0_inv
	s_clause 0x7
	global_load_b128 v[24:27], v14, s[8:9]
	global_load_b128 v[28:31], v14, s[8:9] offset:16
	global_load_b128 v[32:35], v14, s[8:9] offset:32
	;; [unrolled: 1-line block ×6, first 2 shown]
	global_load_b64 v[14:15], v14, s[8:9] offset:112
	ds_load_2addr_stride64_b64 v[52:55], v16 offset1:4
	ds_load_2addr_stride64_b64 v[56:59], v16 offset0:8 offset1:12
	v_and_b32_e32 v60, 0xf0f, v60
	s_delay_alu instid0(VALU_DEP_1)
	v_lshl_add_u32 v81, v60, 3, 0
	ds_load_2addr_stride64_b64 v[60:63], v16 offset0:16 offset1:20
	ds_load_2addr_stride64_b64 v[64:67], v16 offset0:24 offset1:28
	;; [unrolled: 1-line block ×5, first 2 shown]
	s_waitcnt vmcnt(7) lgkmcnt(6)
	v_mul_f32_e32 v82, v25, v55
	v_mul_f32_e32 v25, v25, v54
	s_waitcnt lgkmcnt(5)
	v_mul_f32_e32 v83, v27, v57
	s_waitcnt vmcnt(6)
	v_dual_mul_f32 v27, v27, v56 :: v_dual_mul_f32 v84, v29, v59
	v_mul_f32_e32 v29, v29, v58
	s_delay_alu instid0(VALU_DEP_3) | instskip(SKIP_1) | instid1(VALU_DEP_4)
	v_dual_fmac_f32 v82, v24, v54 :: v_dual_fmac_f32 v83, v26, v56
	v_fma_f32 v54, v24, v55, -v25
	v_fma_f32 v55, v26, v57, -v27
	ds_load_2addr_stride64_b64 v[24:27], v16 offset0:56 offset1:60
	v_fmac_f32_e32 v84, v28, v58
	v_fma_f32 v28, v28, v59, -v29
	s_waitcnt lgkmcnt(5)
	v_mul_f32_e32 v29, v31, v61
	s_waitcnt vmcnt(3) lgkmcnt(3)
	v_mul_f32_e32 v58, v71, v41
	v_mul_f32_e32 v57, v67, v37
	;; [unrolled: 1-line block ×3, first 2 shown]
	v_dual_mul_f32 v56, v63, v33 :: v_dual_fmac_f32 v29, v30, v60
	s_delay_alu instid0(VALU_DEP_4) | instskip(NEXT) | instid1(VALU_DEP_4)
	v_fmac_f32_e32 v58, v70, v40
	v_fmac_f32_e32 v57, v66, v36
	s_delay_alu instid0(VALU_DEP_4)
	v_fma_f32 v36, v67, v36, -v37
	s_waitcnt vmcnt(2) lgkmcnt(1)
	v_mul_f32_e32 v37, v77, v47
	v_mul_f32_e32 v33, v62, v33
	v_fmac_f32_e32 v56, v62, v32
	v_mul_f32_e32 v41, v70, v41
	s_waitcnt vmcnt(0) lgkmcnt(0)
	v_fmac_f32_e32 v37, v76, v46
	v_mul_f32_e32 v31, v31, v60
	v_fma_f32 v32, v63, v32, -v33
	v_dual_mul_f32 v60, v79, v49 :: v_dual_mul_f32 v33, v69, v39
	v_fma_f32 v40, v71, v40, -v41
	s_delay_alu instid0(VALU_DEP_4)
	v_fma_f32 v30, v30, v61, -v31
	v_mul_f32_e32 v31, v65, v35
	v_mul_f32_e32 v35, v64, v35
	v_dual_mul_f32 v61, v27, v15 :: v_dual_fmac_f32 v60, v78, v48
	v_fmac_f32_e32 v33, v68, v38
	v_mul_f32_e32 v15, v26, v15
	s_barrier
	s_delay_alu instid0(VALU_DEP_3)
	v_fmac_f32_e32 v61, v26, v14
	v_fmac_f32_e32 v31, v64, v34
	v_fma_f32 v34, v65, v34, -v35
	v_mul_f32_e32 v39, v68, v39
	v_mul_f32_e32 v35, v73, v43
	v_fma_f32 v14, v27, v14, -v15
	v_mul_f32_e32 v59, v75, v45
	v_sub_f32_e32 v15, v52, v33
	v_fma_f32 v38, v69, v38, -v39
	v_mul_f32_e32 v39, v25, v51
	v_dual_mul_f32 v51, v24, v51 :: v_dual_sub_f32 v26, v29, v37
	v_dual_sub_f32 v14, v36, v14 :: v_dual_fmac_f32 v59, v74, v44
	s_delay_alu instid0(VALU_DEP_3) | instskip(NEXT) | instid1(VALU_DEP_3)
	v_fmac_f32_e32 v39, v24, v50
	v_fma_f32 v24, v25, v50, -v51
	v_sub_f32_e32 v25, v53, v38
	v_sub_f32_e32 v38, v82, v58
	v_fmac_f32_e32 v35, v72, v42
	s_delay_alu instid0(VALU_DEP_4) | instskip(SKIP_1) | instid1(VALU_DEP_3)
	v_dual_mul_f32 v43, v72, v43 :: v_dual_sub_f32 v24, v34, v24
	v_fma_f32 v29, v29, 2.0, -v26
	v_dual_sub_f32 v26, v25, v26 :: v_dual_sub_f32 v33, v83, v35
	v_mul_f32_e32 v45, v74, v45
	s_delay_alu instid0(VALU_DEP_4)
	v_fma_f32 v41, v73, v42, -v43
	v_fma_f32 v34, v34, 2.0, -v24
	v_fma_f32 v36, v36, 2.0, -v14
	v_add_f32_e32 v24, v33, v24
	v_fma_f32 v42, v75, v44, -v45
	v_sub_f32_e32 v35, v55, v41
	v_fma_f32 v45, v52, 2.0, -v15
	buffer_gl0_inv
	v_lshl_add_u32 v75, v22, 3, 0
	v_sub_f32_e32 v42, v28, v42
	v_mul_f32_e32 v47, v76, v47
	v_sub_f32_e32 v29, v45, v29
	v_lshl_add_u32 v76, v21, 3, 0
	s_delay_alu instid0(VALU_DEP_4)
	v_fma_f32 v28, v28, 2.0, -v42
	v_mul_f32_e32 v49, v78, v49
	v_fma_f32 v43, v77, v46, -v47
	v_fma_f32 v46, v53, 2.0, -v25
	v_fma_f32 v47, v83, 2.0, -v33
	v_sub_f32_e32 v36, v28, v36
	v_fma_f32 v44, v79, v48, -v49
	v_sub_f32_e32 v27, v30, v43
	v_sub_f32_e32 v43, v84, v59
	v_fma_f32 v48, v55, 2.0, -v35
	v_fma_f32 v49, v82, 2.0, -v38
	v_sub_f32_e32 v41, v32, v44
	v_fma_f32 v55, v25, 2.0, -v26
	v_add_f32_e32 v14, v43, v14
	v_dual_sub_f32 v44, v57, v61 :: v_dual_sub_f32 v37, v31, v39
	v_sub_f32_e32 v39, v54, v40
	v_sub_f32_e32 v40, v56, v60
	;; [unrolled: 1-line block ×3, first 2 shown]
	s_delay_alu instid0(VALU_DEP_4)
	v_fma_f32 v53, v57, 2.0, -v44
	v_sub_f32_e32 v44, v42, v44
	v_fma_f32 v32, v32, 2.0, -v41
	v_fma_f32 v51, v56, 2.0, -v40
	v_dual_sub_f32 v40, v39, v40 :: v_dual_add_f32 v41, v38, v41
	v_fma_f32 v28, v28, 2.0, -v36
	v_add_f32_e32 v60, v29, v25
	s_delay_alu instid0(VALU_DEP_3) | instskip(SKIP_3) | instid1(VALU_DEP_4)
	v_dual_sub_f32 v34, v49, v51 :: v_dual_fmamk_f32 v57, v44, 0x3f3504f3, v40
	v_fma_f32 v30, v30, 2.0, -v27
	v_fma_f32 v31, v31, 2.0, -v37
	;; [unrolled: 1-line block ×3, first 2 shown]
	v_add_f32_e32 v36, v34, v36
	v_fma_f32 v52, v84, 2.0, -v43
	v_fma_f32 v43, v43, 2.0, -v14
	v_fmamk_f32 v56, v14, 0x3f3504f3, v41
	v_fmac_f32_e32 v57, 0xbf3504f3, v14
	v_dual_fmamk_f32 v14, v36, 0x3f3504f3, v60 :: v_dual_add_f32 v27, v15, v27
	v_dual_sub_f32 v37, v35, v37 :: v_dual_sub_f32 v30, v46, v30
	v_sub_f32_e32 v32, v50, v32
	v_fma_f32 v48, v48, 2.0, -v25
	s_delay_alu instid0(VALU_DEP_4) | instskip(SKIP_4) | instid1(VALU_DEP_4)
	v_fma_f32 v54, v15, 2.0, -v27
	v_sub_f32_e32 v15, v47, v31
	v_fmamk_f32 v51, v24, 0x3f3504f3, v27
	v_fma_f32 v46, v46, 2.0, -v30
	v_fma_f32 v50, v50, 2.0, -v32
	v_dual_fmac_f32 v56, 0x3f3504f3, v44 :: v_dual_sub_f32 v61, v30, v15
	s_delay_alu instid0(VALU_DEP_4)
	v_fmac_f32_e32 v51, 0x3f3504f3, v37
	v_fma_f32 v42, v42, 2.0, -v44
	v_sub_f32_e32 v44, v46, v48
	v_lshl_add_u32 v77, v20, 3, 0
	v_add_nc_u32_e32 v20, 0x2800, v16
	v_fma_f32 v48, v30, 2.0, -v61
	v_fma_f32 v64, v27, 2.0, -v51
	v_sub_f32_e32 v30, v50, v28
	v_fma_f32 v31, v33, 2.0, -v24
	v_fma_f32 v33, v35, 2.0, -v37
	;; [unrolled: 1-line block ×5, first 2 shown]
	s_delay_alu instid0(VALU_DEP_4) | instskip(NEXT) | instid1(VALU_DEP_4)
	v_dual_fmamk_f32 v58, v31, 0xbf3504f3, v54 :: v_dual_fmamk_f32 v59, v33, 0xbf3504f3, v55
	v_fmamk_f32 v62, v43, 0xbf3504f3, v35
	s_delay_alu instid0(VALU_DEP_4) | instskip(SKIP_1) | instid1(VALU_DEP_4)
	v_fmamk_f32 v28, v41, 0xbec3ef15, v64
	v_fma_f32 v38, v39, 2.0, -v40
	v_fmac_f32_e32 v58, 0x3f3504f3, v33
	v_fmac_f32_e32 v59, 0xbf3504f3, v31
	;; [unrolled: 1-line block ×3, first 2 shown]
	v_fma_f32 v40, v40, 2.0, -v57
	v_fmamk_f32 v63, v42, 0xbf3504f3, v38
	v_fma_f32 v42, v34, 2.0, -v36
	v_fma_f32 v46, v46, 2.0, -v44
	v_lshl_add_u32 v78, v19, 3, 0
	v_fmac_f32_e32 v28, 0x3f6c835e, v40
	v_fmac_f32_e32 v63, 0xbf3504f3, v43
	v_sub_f32_e32 v39, v52, v53
	v_fmamk_f32 v53, v37, 0x3f3504f3, v26
	v_lshl_add_u32 v79, v18, 3, 0
	s_delay_alu instid0(VALU_DEP_4) | instskip(NEXT) | instid1(VALU_DEP_4)
	v_fmamk_f32 v33, v63, 0x3ec3ef15, v59
	v_sub_f32_e32 v37, v32, v39
	s_delay_alu instid0(VALU_DEP_4) | instskip(SKIP_1) | instid1(VALU_DEP_4)
	v_fmac_f32_e32 v53, 0xbf3504f3, v24
	v_fmamk_f32 v24, v56, 0x3f6c835e, v51
	v_fmac_f32_e32 v33, 0xbf6c835e, v62
	s_delay_alu instid0(VALU_DEP_4) | instskip(SKIP_1) | instid1(VALU_DEP_4)
	v_fma_f32 v43, v32, 2.0, -v37
	v_fmamk_f32 v32, v62, 0x3ec3ef15, v58
	v_fmac_f32_e32 v24, 0x3ec3ef15, v57
	v_fma_f32 v47, v47, 2.0, -v15
	v_fmamk_f32 v15, v37, 0x3f3504f3, v61
	v_fma_f32 v65, v26, 2.0, -v53
	v_fmac_f32_e32 v32, 0x3f6c835e, v63
	v_fma_f32 v52, v52, 2.0, -v39
	v_fmamk_f32 v25, v57, 0x3f6c835e, v53
	v_fmac_f32_e32 v15, 0xbf3504f3, v36
	v_fmamk_f32 v27, v43, 0xbf3504f3, v48
	s_delay_alu instid0(VALU_DEP_4)
	v_dual_fmac_f32 v14, 0x3f3504f3, v37 :: v_dual_sub_f32 v31, v49, v52
	v_fma_f32 v52, v54, 2.0, -v58
	v_fma_f32 v54, v55, 2.0, -v59
	;; [unrolled: 1-line block ×3, first 2 shown]
	v_fmac_f32_e32 v25, 0xbec3ef15, v56
	v_fma_f32 v34, v49, 2.0, -v31
	v_fma_f32 v49, v50, 2.0, -v30
	v_fma_f32 v50, v35, 2.0, -v62
	v_fmamk_f32 v37, v55, 0xbf6c835e, v54
	v_fmac_f32_e32 v27, 0xbf3504f3, v42
	ds_store_2addr_b64 v81, v[14:15], v[24:25] offset0:224 offset1:240
	v_sub_f32_e32 v35, v46, v49
	v_fmamk_f32 v36, v50, 0xbf6c835e, v52
	v_fma_f32 v45, v45, 2.0, -v29
	v_fmac_f32_e32 v37, 0xbec3ef15, v50
	s_delay_alu instid0(VALU_DEP_3) | instskip(NEXT) | instid1(VALU_DEP_3)
	v_fmac_f32_e32 v36, 0x3ec3ef15, v55
	v_sub_f32_e32 v39, v45, v47
	v_fma_f32 v47, v29, 2.0, -v60
	v_fmamk_f32 v29, v40, 0xbec3ef15, v65
	v_sub_f32_e32 v31, v44, v31
	v_fma_f32 v40, v60, 2.0, -v14
	v_fma_f32 v45, v45, 2.0, -v39
	v_fmamk_f32 v26, v42, 0xbf3504f3, v47
	v_dual_add_f32 v30, v39, v30 :: v_dual_fmac_f32 v29, 0xbf6c835e, v41
	v_fma_f32 v41, v61, 2.0, -v15
	s_delay_alu instid0(VALU_DEP_4) | instskip(NEXT) | instid1(VALU_DEP_4)
	v_sub_f32_e32 v34, v45, v34
	v_fmac_f32_e32 v26, 0x3f3504f3, v43
	v_fma_f32 v42, v51, 2.0, -v24
	v_fma_f32 v43, v53, 2.0, -v25
	;; [unrolled: 1-line block ×12, first 2 shown]
	ds_store_2addr_b64 v81, v[40:41], v[42:43] offset0:96 offset1:112
	ds_store_2addr_b64 v81, v[26:27], v[28:29] offset0:160 offset1:176
	v_fma_f32 v26, v52, 2.0, -v36
	v_fma_f32 v27, v54, 2.0, -v37
	ds_store_2addr_b64 v81, v[30:31], v[32:33] offset0:192 offset1:208
	ds_store_2addr_b64 v81, v[24:25], v[44:45] offset0:32 offset1:48
	;; [unrolled: 1-line block ×4, first 2 shown]
	ds_store_2addr_b64 v81, v[14:15], v[26:27] offset1:16
	s_waitcnt lgkmcnt(0)
	s_barrier
	buffer_gl0_inv
	s_clause 0x7
	global_load_b128 v[31:34], v80, s[8:9] offset:1920
	global_load_b128 v[35:38], v80, s[8:9] offset:1936
	global_load_b128 v[39:42], v80, s[8:9] offset:1952
	global_load_b128 v[43:46], v80, s[8:9] offset:1968
	global_load_b128 v[47:50], v80, s[8:9] offset:1984
	global_load_b128 v[51:54], v80, s[8:9] offset:2000
	global_load_b128 v[55:58], v80, s[8:9] offset:2016
	global_load_b64 v[14:15], v80, s[8:9] offset:2032
	ds_load_b64 v[71:72], v16 offset:8192
	ds_load_2addr_stride64_b64 v[59:62], v16 offset0:8 offset1:12
	ds_load_2addr_stride64_b64 v[63:66], v16 offset1:4
	ds_load_2addr_b32 v[21:22], v20 offset1:1
	v_lshl_add_u32 v80, v17, 3, 0
	ds_load_2addr_stride64_b64 v[17:20], v16 offset0:24 offset1:28
	ds_load_2addr_stride64_b64 v[67:70], v16 offset0:32 offset1:36
	v_lshl_add_u32 v30, v4, 3, 0
	v_lshl_add_u32 v29, v13, 3, 0
	;; [unrolled: 1-line block ×7, first 2 shown]
	s_waitcnt vmcnt(6) lgkmcnt(3)
	v_dual_mul_f32 v86, v32, v66 :: v_dual_mul_f32 v83, v38, v72
	v_mul_f32_e32 v38, v38, v71
	v_mul_f32_e32 v82, v36, v62
	;; [unrolled: 1-line block ×3, first 2 shown]
	s_delay_alu instid0(VALU_DEP_4) | instskip(NEXT) | instid1(VALU_DEP_4)
	v_dual_mul_f32 v32, v32, v65 :: v_dual_fmac_f32 v83, v37, v71
	v_fma_f32 v37, v37, v72, -v38
	ds_load_2addr_stride64_b64 v[71:74], v16 offset0:56 offset1:60
	v_mul_f32_e32 v81, v34, v60
	v_mul_f32_e32 v34, v34, v59
	v_fmac_f32_e32 v82, v35, v61
	v_fma_f32 v85, v35, v62, -v36
	s_waitcnt vmcnt(5) lgkmcnt(3)
	v_dual_mul_f32 v38, v22, v40 :: v_dual_fmac_f32 v81, v33, v59
	v_fma_f32 v84, v33, v60, -v34
	ds_load_2addr_stride64_b64 v[33:36], v16 offset0:40 offset1:44
	ds_load_2addr_stride64_b64 v[59:62], v16 offset0:48 offset1:52
	v_mul_f32_e32 v40, v40, v21
	v_fmac_f32_e32 v86, v31, v65
	v_fma_f32 v31, v31, v66, -v32
	s_waitcnt lgkmcnt(4)
	v_mul_f32_e32 v32, v18, v42
	v_fmac_f32_e32 v38, v39, v21
	v_fma_f32 v21, v22, v39, -v40
	v_mul_f32_e32 v22, v17, v42
	s_waitcnt vmcnt(4) lgkmcnt(3)
	v_mul_f32_e32 v40, v67, v46
	v_fmac_f32_e32 v32, v17, v41
	s_waitcnt vmcnt(0) lgkmcnt(0)
	s_barrier
	v_fma_f32 v17, v18, v41, -v22
	v_mul_f32_e32 v18, v19, v44
	v_mul_f32_e32 v22, v68, v46
	v_fma_f32 v40, v68, v45, -v40
	buffer_gl0_inv
	v_fma_f32 v18, v20, v43, -v18
	v_mul_f32_e32 v42, v33, v50
	v_dual_fmac_f32 v22, v67, v45 :: v_dual_mul_f32 v45, v60, v54
	v_mul_f32_e32 v46, v59, v54
	v_dual_mul_f32 v54, v74, v15 :: v_dual_mul_f32 v39, v20, v44
	v_mul_f32_e32 v20, v34, v50
	v_mul_f32_e32 v50, v72, v58
	;; [unrolled: 1-line block ×3, first 2 shown]
	s_delay_alu instid0(VALU_DEP_4)
	v_fmac_f32_e32 v54, v73, v14
	v_mul_f32_e32 v15, v73, v15
	v_fmac_f32_e32 v20, v33, v49
	v_fmac_f32_e32 v50, v71, v57
	;; [unrolled: 1-line block ×3, first 2 shown]
	v_dual_mul_f32 v43, v36, v52 :: v_dual_mul_f32 v52, v71, v58
	v_fma_f32 v33, v34, v49, -v42
	v_sub_f32_e32 v20, v81, v20
	v_mul_f32_e32 v19, v69, v48
	v_fma_f32 v34, v36, v51, -v44
	v_sub_f32_e32 v44, v32, v50
	v_fma_f32 v42, v72, v57, -v52
	v_fma_f32 v14, v74, v14, -v15
	;; [unrolled: 1-line block ×3, first 2 shown]
	v_sub_f32_e32 v33, v84, v33
	v_sub_f32_e32 v15, v63, v22
	v_dual_sub_f32 v42, v17, v42 :: v_dual_fmac_f32 v45, v59, v53
	v_sub_f32_e32 v22, v64, v40
	v_dual_sub_f32 v14, v18, v14 :: v_dual_fmac_f32 v43, v35, v51
	v_sub_f32_e32 v34, v85, v34
	s_delay_alu instid0(VALU_DEP_4)
	v_fma_f32 v17, v17, 2.0, -v42
	v_dual_add_f32 v42, v20, v42 :: v_dual_mul_f32 v41, v70, v48
	v_sub_f32_e32 v40, v83, v45
	v_fma_f32 v35, v60, v53, -v46
	v_sub_f32_e32 v46, v39, v54
	v_fma_f32 v32, v32, 2.0, -v44
	v_fmac_f32_e32 v41, v69, v47
	v_mul_f32_e32 v47, v61, v56
	v_fma_f32 v49, v83, 2.0, -v40
	v_sub_f32_e32 v40, v22, v40
	v_mul_f32_e32 v48, v62, v56
	v_sub_f32_e32 v41, v86, v41
	v_fma_f32 v36, v62, v55, -v47
	v_fma_f32 v50, v81, 2.0, -v20
	v_fma_f32 v54, v85, 2.0, -v34
	v_fmac_f32_e32 v48, v61, v55
	v_fma_f32 v18, v18, 2.0, -v14
	v_dual_sub_f32 v36, v21, v36 :: v_dual_sub_f32 v19, v31, v19
	v_fma_f32 v20, v20, 2.0, -v42
	v_fma_f32 v39, v39, 2.0, -v46
	v_sub_f32_e32 v46, v34, v46
	s_delay_alu instid0(VALU_DEP_4)
	v_fma_f32 v21, v21, 2.0, -v36
	v_add_f32_e32 v36, v41, v36
	v_sub_f32_e32 v44, v33, v44
	v_fma_f32 v47, v63, 2.0, -v15
	v_sub_f32_e32 v18, v54, v18
	v_fma_f32 v51, v84, 2.0, -v33
	v_fma_f32 v31, v31, 2.0, -v19
	v_dual_fmamk_f32 v56, v44, 0x3f3504f3, v40 :: v_dual_sub_f32 v43, v82, v43
	v_fma_f32 v52, v86, 2.0, -v41
	v_fma_f32 v54, v54, 2.0, -v18
	;; [unrolled: 1-line block ×3, first 2 shown]
	s_delay_alu instid0(VALU_DEP_4) | instskip(SKIP_2) | instid1(VALU_DEP_3)
	v_dual_fmac_f32 v56, 0xbf3504f3, v42 :: v_dual_sub_f32 v35, v37, v35
	v_add_f32_e32 v14, v43, v14
	v_fma_f32 v53, v82, 2.0, -v43
	v_fma_f32 v65, v40, 2.0, -v56
	s_delay_alu instid0(VALU_DEP_4) | instskip(SKIP_1) | instid1(VALU_DEP_1)
	v_fma_f32 v37, v37, 2.0, -v35
	v_add_f32_e32 v35, v15, v35
	v_fma_f32 v55, v15, 2.0, -v35
	v_sub_f32_e32 v15, v50, v32
	v_fma_f32 v32, v33, 2.0, -v44
	v_sub_f32_e32 v45, v38, v48
	v_fma_f32 v48, v64, 2.0, -v22
	v_fma_f32 v22, v22, 2.0, -v40
	s_delay_alu instid0(VALU_DEP_1) | instskip(NEXT) | instid1(VALU_DEP_4)
	v_fmamk_f32 v60, v32, 0xbf3504f3, v22
	v_fma_f32 v38, v38, 2.0, -v45
	s_delay_alu instid0(VALU_DEP_1)
	v_dual_fmac_f32 v60, 0xbf3504f3, v20 :: v_dual_sub_f32 v33, v52, v38
	v_fma_f32 v38, v41, 2.0, -v36
	v_fma_f32 v41, v43, 2.0, -v14
	v_sub_f32_e32 v37, v48, v37
	v_fmamk_f32 v59, v20, 0xbf3504f3, v55
	v_fma_f32 v52, v52, 2.0, -v33
	v_fmamk_f32 v43, v42, 0x3f3504f3, v35
	v_dual_fmamk_f32 v42, v41, 0xbf3504f3, v38 :: v_dual_sub_f32 v45, v19, v45
	v_dual_sub_f32 v62, v37, v15 :: v_dual_sub_f32 v49, v47, v49
	v_fma_f32 v48, v48, 2.0, -v37
	v_fmac_f32_e32 v59, 0x3f3504f3, v32
	s_delay_alu instid0(VALU_DEP_4) | instskip(SKIP_3) | instid1(VALU_DEP_4)
	v_fmamk_f32 v58, v46, 0x3f3504f3, v45
	v_fma_f32 v19, v19, 2.0, -v45
	v_fma_f32 v47, v47, 2.0, -v49
	v_dual_sub_f32 v17, v51, v17 :: v_dual_fmac_f32 v42, 0x3f3504f3, v34
	v_fmac_f32_e32 v58, 0xbf3504f3, v14
	v_fma_f32 v50, v50, 2.0, -v15
	v_sub_f32_e32 v39, v53, v39
	s_delay_alu instid0(VALU_DEP_3) | instskip(SKIP_2) | instid1(VALU_DEP_3)
	v_dual_add_f32 v63, v33, v18 :: v_dual_fmamk_f32 v18, v58, 0x3f6c835e, v56
	v_fmamk_f32 v57, v14, 0x3f3504f3, v36
	v_fma_f32 v45, v45, 2.0, -v58
	v_fma_f32 v40, v33, 2.0, -v63
	s_delay_alu instid0(VALU_DEP_3) | instskip(SKIP_2) | instid1(VALU_DEP_2)
	v_fmac_f32_e32 v57, 0x3f3504f3, v46
	v_sub_f32_e32 v46, v47, v50
	v_fma_f32 v53, v53, 2.0, -v39
	v_fma_f32 v47, v47, 2.0, -v46
	s_delay_alu instid0(VALU_DEP_2)
	v_dual_sub_f32 v32, v52, v53 :: v_dual_fmac_f32 v43, 0x3f3504f3, v44
	v_fmamk_f32 v44, v34, 0xbf3504f3, v19
	v_fma_f32 v51, v51, 2.0, -v17
	v_sub_f32_e32 v21, v31, v21
	v_add_f32_e32 v61, v49, v17
	v_fma_f32 v53, v36, 2.0, -v57
	v_fmac_f32_e32 v44, 0xbf3504f3, v41
	v_sub_f32_e32 v50, v48, v51
	v_fma_f32 v31, v31, 2.0, -v21
	v_dual_sub_f32 v39, v21, v39 :: v_dual_fmamk_f32 v14, v63, 0x3f3504f3, v61
	v_fma_f32 v51, v37, 2.0, -v62
	v_fma_f32 v36, v52, 2.0, -v32
	v_sub_f32_e32 v32, v50, v32
	s_delay_alu instid0(VALU_DEP_4)
	v_fma_f32 v41, v21, 2.0, -v39
	v_fmac_f32_e32 v14, 0x3f3504f3, v39
	v_fma_f32 v64, v35, 2.0, -v43
	v_sub_f32_e32 v35, v31, v54
	v_fma_f32 v48, v48, 2.0, -v50
	v_fmamk_f32 v20, v41, 0xbf3504f3, v51
	v_fma_f32 v54, v55, 2.0, -v59
	v_fma_f32 v55, v22, 2.0, -v60
	;; [unrolled: 1-line block ×6, first 2 shown]
	v_dual_fmamk_f32 v22, v45, 0xbec3ef15, v65 :: v_dual_add_f32 v31, v46, v35
	s_delay_alu instid0(VALU_DEP_3)
	v_dual_sub_f32 v35, v47, v36 :: v_dual_fmamk_f32 v38, v66, 0xbf6c835e, v55
	v_sub_f32_e32 v36, v48, v37
	v_fmamk_f32 v37, v52, 0xbf6c835e, v54
	v_dual_fmamk_f32 v19, v40, 0xbf3504f3, v49 :: v_dual_fmac_f32 v20, 0xbf3504f3, v40
	v_fmamk_f32 v21, v53, 0xbec3ef15, v64
	v_fmamk_f32 v15, v39, 0x3f3504f3, v62
	;; [unrolled: 1-line block ×3, first 2 shown]
	v_dual_fmamk_f32 v33, v42, 0x3ec3ef15, v59 :: v_dual_fmamk_f32 v34, v44, 0x3ec3ef15, v60
	v_fmac_f32_e32 v37, 0x3ec3ef15, v66
	v_fmac_f32_e32 v38, 0xbec3ef15, v52
	v_fmac_f32_e32 v19, 0x3f3504f3, v41
	v_fmac_f32_e32 v21, 0x3f6c835e, v45
	v_fmac_f32_e32 v22, 0xbf6c835e, v53
	v_fmac_f32_e32 v15, 0xbf3504f3, v63
	v_fmac_f32_e32 v17, 0x3ec3ef15, v58
	v_fmac_f32_e32 v18, 0xbec3ef15, v57
	v_fma_f32 v39, v46, 2.0, -v31
	v_fmac_f32_e32 v33, 0x3f6c835e, v44
	v_fmac_f32_e32 v34, 0xbf6c835e, v42
	v_fma_f32 v45, v47, 2.0, -v35
	v_fma_f32 v46, v48, 2.0, -v36
	;; [unrolled: 1-line block ×15, first 2 shown]
	ds_store_b64 v16, v[45:46]
	ds_store_b64 v30, v[51:52]
	;; [unrolled: 1-line block ×16, first 2 shown]
	s_waitcnt lgkmcnt(0)
	s_barrier
	buffer_gl0_inv
	ds_load_b64 v[14:15], v16
	v_sub_nc_u32_e32 v17, 0, v23
                                        ; implicit-def: $vgpr18
                                        ; implicit-def: $vgpr1
	v_cmpx_ne_u32_e32 0, v0
	s_xor_b32 s5, exec_lo, s5
	s_cbranch_execz .LBB0_15
; %bb.14:
	ds_load_b64 v[20:21], v17 offset:32768
	v_mov_b32_e32 v1, 0
	s_delay_alu instid0(VALU_DEP_1) | instskip(NEXT) | instid1(VALU_DEP_1)
	v_lshlrev_b64 v[18:19], 3, v[0:1]
	v_add_co_u32 v18, s0, s1, v18
	s_delay_alu instid0(VALU_DEP_1)
	v_add_co_ci_u32_e64 v19, s0, s4, v19, s0
	global_load_b64 v[18:19], v[18:19], off
	s_waitcnt lgkmcnt(0)
	v_dual_sub_f32 v1, v14, v20 :: v_dual_add_f32 v14, v20, v14
	v_add_f32_e32 v5, v21, v15
	v_sub_f32_e32 v15, v15, v21
	s_delay_alu instid0(VALU_DEP_3) | instskip(NEXT) | instid1(VALU_DEP_3)
	v_mul_f32_e32 v21, 0.5, v1
	v_mul_f32_e32 v5, 0.5, v5
	s_delay_alu instid0(VALU_DEP_3) | instskip(SKIP_1) | instid1(VALU_DEP_3)
	v_mul_f32_e32 v1, 0.5, v15
	s_waitcnt vmcnt(0)
	v_mul_f32_e32 v15, v19, v21
	s_delay_alu instid0(VALU_DEP_2) | instskip(SKIP_1) | instid1(VALU_DEP_3)
	v_fma_f32 v20, v5, v19, v1
	v_fma_f32 v19, v5, v19, -v1
	v_fma_f32 v1, 0.5, v14, v15
	v_fma_f32 v14, v14, 0.5, -v15
	s_delay_alu instid0(VALU_DEP_4) | instskip(NEXT) | instid1(VALU_DEP_4)
	v_fma_f32 v15, -v18, v21, v20
	v_fma_f32 v19, -v18, v21, v19
	ds_store_b32 v16, v15 offset:4
	ds_store_b32 v17, v19 offset:32772
	v_fmac_f32_e32 v1, v18, v5
	v_fma_f32 v18, -v18, v5, v14
                                        ; implicit-def: $vgpr14_vgpr15
.LBB0_15:
	s_and_not1_saveexec_b32 s0, s5
	s_cbranch_execz .LBB0_17
; %bb.16:
	v_mov_b32_e32 v5, 0
	s_waitcnt lgkmcnt(0)
	v_add_f32_e32 v1, v14, v15
	ds_store_b32 v16, v5 offset:4
	ds_store_b32 v17, v5 offset:32772
	ds_load_b32 v18, v5 offset:16388
	s_waitcnt lgkmcnt(0)
	v_xor_b32_e32 v19, 0x80000000, v18
	v_sub_f32_e32 v18, v14, v15
	ds_store_b32 v5, v19 offset:16388
.LBB0_17:
	s_or_b32 exec_lo, exec_lo, s0
	v_mov_b32_e32 v5, 0
	s_waitcnt lgkmcnt(0)
	s_delay_alu instid0(VALU_DEP_1) | instskip(NEXT) | instid1(VALU_DEP_1)
	v_lshlrev_b64 v[14:15], 3, v[4:5]
	v_add_co_u32 v14, s0, s1, v14
	s_delay_alu instid0(VALU_DEP_1) | instskip(SKIP_2) | instid1(VALU_DEP_1)
	v_add_co_ci_u32_e64 v15, s0, s4, v15, s0
	global_load_b64 v[19:20], v[14:15], off
	v_mov_b32_e32 v14, v5
	v_lshlrev_b64 v[13:14], 3, v[13:14]
	s_delay_alu instid0(VALU_DEP_1) | instskip(NEXT) | instid1(VALU_DEP_1)
	v_add_co_u32 v13, s0, s1, v13
	v_add_co_ci_u32_e64 v14, s0, s4, v14, s0
	global_load_b64 v[14:15], v[13:14], off
	v_mov_b32_e32 v13, v5
	s_delay_alu instid0(VALU_DEP_1) | instskip(NEXT) | instid1(VALU_DEP_1)
	v_lshlrev_b64 v[12:13], 3, v[12:13]
	v_add_co_u32 v12, s0, s1, v12
	s_delay_alu instid0(VALU_DEP_1) | instskip(SKIP_2) | instid1(VALU_DEP_1)
	v_add_co_ci_u32_e64 v13, s0, s4, v13, s0
	global_load_b64 v[21:22], v[12:13], off
	v_mov_b32_e32 v12, v5
	v_lshlrev_b64 v[11:12], 3, v[11:12]
	s_delay_alu instid0(VALU_DEP_1) | instskip(NEXT) | instid1(VALU_DEP_1)
	v_add_co_u32 v11, s0, s1, v11
	v_add_co_ci_u32_e64 v12, s0, s4, v12, s0
	global_load_b64 v[12:13], v[11:12], off
	v_mov_b32_e32 v11, v5
	s_delay_alu instid0(VALU_DEP_1) | instskip(NEXT) | instid1(VALU_DEP_1)
	v_lshlrev_b64 v[10:11], 3, v[10:11]
	v_add_co_u32 v10, s0, s1, v10
	s_delay_alu instid0(VALU_DEP_1) | instskip(SKIP_2) | instid1(VALU_DEP_1)
	v_add_co_ci_u32_e64 v11, s0, s4, v11, s0
	global_load_b64 v[31:32], v[10:11], off
	v_mov_b32_e32 v10, v5
	v_lshlrev_b64 v[9:10], 3, v[9:10]
	s_delay_alu instid0(VALU_DEP_1) | instskip(NEXT) | instid1(VALU_DEP_1)
	v_add_co_u32 v9, s0, s1, v9
	v_add_co_ci_u32_e64 v10, s0, s4, v10, s0
	global_load_b64 v[10:11], v[9:10], off
	v_mov_b32_e32 v9, v5
	ds_store_b32 v16, v1
	ds_store_b32 v17, v18 offset:32768
	v_lshlrev_b64 v[8:9], 3, v[8:9]
	s_delay_alu instid0(VALU_DEP_1) | instskip(NEXT) | instid1(VALU_DEP_1)
	v_add_co_u32 v8, s0, s1, v8
	v_add_co_ci_u32_e64 v9, s0, s4, v9, s0
	global_load_b64 v[8:9], v[8:9], off
	ds_load_b64 v[33:34], v30
	ds_load_b64 v[35:36], v17 offset:30720
	s_waitcnt lgkmcnt(0)
	v_add_f32_e32 v4, v34, v36
	v_sub_f32_e32 v16, v34, v36
	v_add_f32_e32 v18, v33, v35
	s_delay_alu instid0(VALU_DEP_3) | instskip(NEXT) | instid1(VALU_DEP_1)
	v_dual_mul_f32 v4, 0.5, v4 :: v_dual_sub_f32 v1, v33, v35
	v_dual_mul_f32 v16, 0.5, v16 :: v_dual_mul_f32 v1, 0.5, v1
	s_waitcnt vmcnt(6)
	s_delay_alu instid0(VALU_DEP_1) | instskip(NEXT) | instid1(VALU_DEP_2)
	v_mul_f32_e32 v23, v20, v1
	v_fma_f32 v33, v4, v20, v16
	v_fma_f32 v16, v4, v20, -v16
	s_delay_alu instid0(VALU_DEP_3) | instskip(SKIP_1) | instid1(VALU_DEP_4)
	v_fma_f32 v34, 0.5, v18, v23
	v_fma_f32 v18, v18, 0.5, -v23
	v_fma_f32 v23, -v19, v1, v33
	s_delay_alu instid0(VALU_DEP_4) | instskip(NEXT) | instid1(VALU_DEP_4)
	v_fma_f32 v20, -v19, v1, v16
	v_fmac_f32_e32 v34, v19, v4
	s_delay_alu instid0(VALU_DEP_4)
	v_fma_f32 v19, -v19, v4, v18
	ds_store_2addr_b32 v30, v34, v23 offset1:1
	ds_store_b64 v17, v[19:20] offset:30720
	ds_load_b64 v[18:19], v29
	ds_load_b64 v[33:34], v17 offset:28672
	s_waitcnt lgkmcnt(0)
	v_dual_sub_f32 v1, v18, v33 :: v_dual_add_f32 v4, v19, v34
	v_sub_f32_e32 v16, v19, v34
	v_add_f32_e32 v18, v18, v33
	s_delay_alu instid0(VALU_DEP_3) | instskip(SKIP_1) | instid1(VALU_DEP_1)
	v_dual_mul_f32 v1, 0.5, v1 :: v_dual_mul_f32 v4, 0.5, v4
	s_waitcnt vmcnt(5)
	v_dual_mul_f32 v16, 0.5, v16 :: v_dual_mul_f32 v19, v15, v1
	s_delay_alu instid0(VALU_DEP_1) | instskip(SKIP_1) | instid1(VALU_DEP_3)
	v_fma_f32 v20, v4, v15, v16
	v_fma_f32 v15, v4, v15, -v16
	v_fma_f32 v16, 0.5, v18, v19
	v_fma_f32 v18, v18, 0.5, -v19
	s_delay_alu instid0(VALU_DEP_4) | instskip(NEXT) | instid1(VALU_DEP_4)
	v_fma_f32 v19, -v14, v1, v20
	v_fma_f32 v15, -v14, v1, v15
	s_delay_alu instid0(VALU_DEP_4) | instskip(NEXT) | instid1(VALU_DEP_4)
	v_fmac_f32_e32 v16, v14, v4
	v_fma_f32 v14, -v14, v4, v18
	ds_store_2addr_b32 v29, v16, v19 offset1:1
	ds_store_b64 v17, v[14:15] offset:28672
	ds_load_b64 v[14:15], v28
	ds_load_b64 v[18:19], v17 offset:26624
	s_waitcnt lgkmcnt(0)
	v_dual_sub_f32 v1, v14, v18 :: v_dual_add_f32 v4, v15, v19
	v_sub_f32_e32 v15, v15, v19
	s_delay_alu instid0(VALU_DEP_2) | instskip(NEXT) | instid1(VALU_DEP_2)
	v_dual_mul_f32 v1, 0.5, v1 :: v_dual_mul_f32 v4, 0.5, v4
	v_dual_add_f32 v14, v14, v18 :: v_dual_mul_f32 v15, 0.5, v15
	s_waitcnt vmcnt(4)
	s_delay_alu instid0(VALU_DEP_2) | instskip(NEXT) | instid1(VALU_DEP_2)
	v_mul_f32_e32 v16, v22, v1
	v_fma_f32 v18, v4, v22, v15
	v_fma_f32 v15, v4, v22, -v15
	s_delay_alu instid0(VALU_DEP_3) | instskip(NEXT) | instid1(VALU_DEP_2)
	v_fma_f32 v19, 0.5, v14, v16
	v_fma_f32 v15, -v21, v1, v15
	s_delay_alu instid0(VALU_DEP_2) | instskip(SKIP_2) | instid1(VALU_DEP_2)
	v_fmac_f32_e32 v19, v21, v4
	v_fma_f32 v14, v14, 0.5, -v16
	v_fma_f32 v16, -v21, v1, v18
	v_fma_f32 v14, -v21, v4, v14
	ds_store_2addr_b32 v28, v19, v16 offset1:1
	ds_store_b64 v17, v[14:15] offset:26624
	ds_load_b64 v[14:15], v27
	ds_load_b64 v[18:19], v17 offset:24576
	s_waitcnt lgkmcnt(0)
	v_dual_sub_f32 v1, v14, v18 :: v_dual_add_f32 v4, v15, v19
	v_sub_f32_e32 v15, v15, v19
	s_delay_alu instid0(VALU_DEP_2) | instskip(NEXT) | instid1(VALU_DEP_2)
	v_dual_mul_f32 v1, 0.5, v1 :: v_dual_mul_f32 v4, 0.5, v4
	v_dual_mul_f32 v15, 0.5, v15 :: v_dual_add_f32 v14, v14, v18
	s_waitcnt vmcnt(3)
	s_delay_alu instid0(VALU_DEP_2) | instskip(NEXT) | instid1(VALU_DEP_2)
	v_mul_f32_e32 v16, v13, v1
	v_fma_f32 v18, v4, v13, v15
	v_fma_f32 v13, v4, v13, -v15
	s_delay_alu instid0(VALU_DEP_3) | instskip(NEXT) | instid1(VALU_DEP_2)
	v_fma_f32 v15, 0.5, v14, v16
	v_fma_f32 v13, -v12, v1, v13
	s_delay_alu instid0(VALU_DEP_2) | instskip(SKIP_2) | instid1(VALU_DEP_2)
	v_fmac_f32_e32 v15, v12, v4
	v_fma_f32 v14, v14, 0.5, -v16
	v_fma_f32 v16, -v12, v1, v18
	v_fma_f32 v12, -v12, v4, v14
	ds_store_2addr_b32 v27, v15, v16 offset1:1
	ds_store_b64 v17, v[12:13] offset:24576
	ds_load_b64 v[12:13], v26
	ds_load_b64 v[14:15], v17 offset:22528
	s_waitcnt lgkmcnt(0)
	v_dual_sub_f32 v1, v12, v14 :: v_dual_add_f32 v4, v13, v15
	v_dual_sub_f32 v13, v13, v15 :: v_dual_add_f32 v12, v12, v14
	s_delay_alu instid0(VALU_DEP_2) | instskip(NEXT) | instid1(VALU_DEP_2)
	v_dual_mul_f32 v1, 0.5, v1 :: v_dual_mul_f32 v4, 0.5, v4
	v_mul_f32_e32 v13, 0.5, v13
	s_waitcnt vmcnt(2)
	s_delay_alu instid0(VALU_DEP_2) | instskip(NEXT) | instid1(VALU_DEP_2)
	v_mul_f32_e32 v14, v32, v1
	v_fma_f32 v15, v4, v32, v13
	v_fma_f32 v13, v4, v32, -v13
	s_delay_alu instid0(VALU_DEP_3) | instskip(SKIP_1) | instid1(VALU_DEP_4)
	v_fma_f32 v16, 0.5, v12, v14
	v_fma_f32 v12, v12, 0.5, -v14
	v_fma_f32 v14, -v31, v1, v15
	s_delay_alu instid0(VALU_DEP_4) | instskip(NEXT) | instid1(VALU_DEP_4)
	v_fma_f32 v13, -v31, v1, v13
	v_fmac_f32_e32 v16, v31, v4
	s_delay_alu instid0(VALU_DEP_4)
	v_fma_f32 v12, -v31, v4, v12
	ds_store_2addr_b32 v26, v16, v14 offset1:1
	ds_store_b64 v17, v[12:13] offset:22528
	ds_load_b64 v[12:13], v25
	ds_load_b64 v[14:15], v17 offset:20480
	s_waitcnt lgkmcnt(0)
	v_dual_sub_f32 v1, v12, v14 :: v_dual_add_f32 v4, v13, v15
	v_dual_sub_f32 v13, v13, v15 :: v_dual_add_f32 v12, v12, v14
	s_delay_alu instid0(VALU_DEP_2) | instskip(NEXT) | instid1(VALU_DEP_2)
	v_mul_f32_e32 v1, 0.5, v1
	v_dual_mul_f32 v13, 0.5, v13 :: v_dual_mul_f32 v4, 0.5, v4
	s_waitcnt vmcnt(1)
	s_delay_alu instid0(VALU_DEP_2) | instskip(NEXT) | instid1(VALU_DEP_2)
	v_mul_f32_e32 v14, v11, v1
	v_fma_f32 v15, v4, v11, v13
	v_fma_f32 v11, v4, v11, -v13
	s_delay_alu instid0(VALU_DEP_3) | instskip(SKIP_1) | instid1(VALU_DEP_4)
	v_fma_f32 v13, 0.5, v12, v14
	v_fma_f32 v12, v12, 0.5, -v14
	v_fma_f32 v14, -v10, v1, v15
	s_delay_alu instid0(VALU_DEP_4) | instskip(NEXT) | instid1(VALU_DEP_4)
	v_fma_f32 v11, -v10, v1, v11
	v_fmac_f32_e32 v13, v10, v4
	s_delay_alu instid0(VALU_DEP_4)
	v_fma_f32 v10, -v10, v4, v12
	ds_store_2addr_b32 v25, v13, v14 offset1:1
	ds_store_b64 v17, v[10:11] offset:20480
	ds_load_b64 v[10:11], v24
	ds_load_b64 v[12:13], v17 offset:18432
	s_waitcnt lgkmcnt(0)
	v_dual_sub_f32 v1, v10, v12 :: v_dual_add_f32 v4, v11, v13
	v_dual_sub_f32 v11, v11, v13 :: v_dual_add_f32 v10, v10, v12
	s_delay_alu instid0(VALU_DEP_2) | instskip(NEXT) | instid1(VALU_DEP_2)
	v_mul_f32_e32 v1, 0.5, v1
	v_dual_mul_f32 v11, 0.5, v11 :: v_dual_mul_f32 v4, 0.5, v4
	s_waitcnt vmcnt(0)
	s_delay_alu instid0(VALU_DEP_2) | instskip(NEXT) | instid1(VALU_DEP_2)
	v_mul_f32_e32 v12, v9, v1
	v_fma_f32 v13, v4, v9, v11
	v_fma_f32 v9, v4, v9, -v11
	s_delay_alu instid0(VALU_DEP_3) | instskip(NEXT) | instid1(VALU_DEP_2)
	v_fma_f32 v11, 0.5, v10, v12
	v_fma_f32 v9, -v8, v1, v9
	s_delay_alu instid0(VALU_DEP_2) | instskip(SKIP_2) | instid1(VALU_DEP_2)
	v_fmac_f32_e32 v11, v8, v4
	v_fma_f32 v10, v10, 0.5, -v12
	v_fma_f32 v12, -v8, v1, v13
	v_fma_f32 v8, -v8, v4, v10
	ds_store_2addr_b32 v24, v11, v12 offset1:1
	ds_store_b64 v17, v[8:9] offset:18432
	s_waitcnt lgkmcnt(0)
	s_barrier
	buffer_gl0_inv
	s_and_saveexec_b32 s0, vcc_lo
	s_cbranch_execz .LBB0_20
; %bb.18:
	v_mul_lo_u32 v1, s3, v6
	v_mul_lo_u32 v4, s2, v7
	v_mad_u64_u32 v[10:11], null, s2, v6, 0
	v_lshl_add_u32 v24, v0, 3, 0
	v_lshlrev_b64 v[2:3], 3, v[2:3]
	ds_load_2addr_stride64_b64 v[6:9], v24 offset1:4
	v_add3_u32 v11, v11, v4, v1
	v_dual_mov_b32 v1, v5 :: v_dual_add_nc_u32 v4, 0x100, v0
	s_delay_alu instid0(VALU_DEP_2) | instskip(NEXT) | instid1(VALU_DEP_2)
	v_lshlrev_b64 v[14:15], 3, v[10:11]
	v_lshlrev_b64 v[16:17], 3, v[0:1]
	s_delay_alu instid0(VALU_DEP_3)
	v_lshlrev_b64 v[18:19], 3, v[4:5]
	v_add_nc_u32_e32 v4, 0x200, v0
	ds_load_2addr_stride64_b64 v[10:13], v24 offset0:8 offset1:12
	v_add_co_u32 v1, vcc_lo, s6, v14
	v_add_co_ci_u32_e32 v20, vcc_lo, s7, v15, vcc_lo
	v_lshlrev_b64 v[14:15], 3, v[4:5]
	s_delay_alu instid0(VALU_DEP_3) | instskip(NEXT) | instid1(VALU_DEP_3)
	v_add_co_u32 v1, vcc_lo, v1, v2
	v_add_co_ci_u32_e32 v2, vcc_lo, v20, v3, vcc_lo
	v_add_nc_u32_e32 v4, 0x300, v0
	s_delay_alu instid0(VALU_DEP_3) | instskip(NEXT) | instid1(VALU_DEP_3)
	v_add_co_u32 v16, vcc_lo, v1, v16
	v_add_co_ci_u32_e32 v17, vcc_lo, v2, v17, vcc_lo
	v_add_co_u32 v18, vcc_lo, v1, v18
	s_delay_alu instid0(VALU_DEP_4)
	v_lshlrev_b64 v[20:21], 3, v[4:5]
	v_add_nc_u32_e32 v4, 0x400, v0
	v_add_co_ci_u32_e32 v19, vcc_lo, v2, v19, vcc_lo
	v_add_co_u32 v14, vcc_lo, v1, v14
	v_add_co_ci_u32_e32 v15, vcc_lo, v2, v15, vcc_lo
	v_add_co_u32 v20, vcc_lo, v1, v20
	v_lshlrev_b64 v[22:23], 3, v[4:5]
	v_add_nc_u32_e32 v4, 0x500, v0
	v_add_co_ci_u32_e32 v21, vcc_lo, v2, v21, vcc_lo
	s_waitcnt lgkmcnt(1)
	s_clause 0x1
	global_store_b64 v[16:17], v[6:7], off
	global_store_b64 v[18:19], v[8:9], off
	s_waitcnt lgkmcnt(0)
	s_clause 0x1
	global_store_b64 v[14:15], v[10:11], off
	global_store_b64 v[20:21], v[12:13], off
	ds_load_2addr_stride64_b64 v[6:9], v24 offset0:16 offset1:20
	v_lshlrev_b64 v[14:15], 3, v[4:5]
	v_add_nc_u32_e32 v4, 0x600, v0
	ds_load_2addr_stride64_b64 v[10:13], v24 offset0:24 offset1:28
	v_add_co_u32 v16, vcc_lo, v1, v22
	v_add_co_ci_u32_e32 v17, vcc_lo, v2, v23, vcc_lo
	v_lshlrev_b64 v[18:19], 3, v[4:5]
	v_add_nc_u32_e32 v4, 0x700, v0
	v_add_co_u32 v14, vcc_lo, v1, v14
	v_add_co_ci_u32_e32 v15, vcc_lo, v2, v15, vcc_lo
	s_delay_alu instid0(VALU_DEP_3) | instskip(SKIP_3) | instid1(VALU_DEP_4)
	v_lshlrev_b64 v[20:21], 3, v[4:5]
	v_add_nc_u32_e32 v4, 0x800, v0
	v_add_co_u32 v18, vcc_lo, v1, v18
	v_add_co_ci_u32_e32 v19, vcc_lo, v2, v19, vcc_lo
	v_add_co_u32 v20, vcc_lo, v1, v20
	s_delay_alu instid0(VALU_DEP_4)
	v_lshlrev_b64 v[22:23], 3, v[4:5]
	v_add_nc_u32_e32 v4, 0x900, v0
	v_add_co_ci_u32_e32 v21, vcc_lo, v2, v21, vcc_lo
	s_waitcnt lgkmcnt(1)
	s_clause 0x1
	global_store_b64 v[16:17], v[6:7], off
	global_store_b64 v[14:15], v[8:9], off
	s_waitcnt lgkmcnt(0)
	s_clause 0x1
	global_store_b64 v[18:19], v[10:11], off
	global_store_b64 v[20:21], v[12:13], off
	ds_load_2addr_stride64_b64 v[6:9], v24 offset0:32 offset1:36
	v_lshlrev_b64 v[14:15], 3, v[4:5]
	v_add_nc_u32_e32 v4, 0xa00, v0
	ds_load_2addr_stride64_b64 v[10:13], v24 offset0:40 offset1:44
	v_add_co_u32 v16, vcc_lo, v1, v22
	v_add_co_ci_u32_e32 v17, vcc_lo, v2, v23, vcc_lo
	v_lshlrev_b64 v[18:19], 3, v[4:5]
	v_add_nc_u32_e32 v4, 0xb00, v0
	v_add_co_u32 v14, vcc_lo, v1, v14
	v_add_co_ci_u32_e32 v15, vcc_lo, v2, v15, vcc_lo
	s_delay_alu instid0(VALU_DEP_3) | instskip(SKIP_3) | instid1(VALU_DEP_3)
	v_lshlrev_b64 v[20:21], 3, v[4:5]
	v_add_nc_u32_e32 v4, 0xc00, v0
	v_add_co_u32 v18, vcc_lo, v1, v18
	v_add_co_ci_u32_e32 v19, vcc_lo, v2, v19, vcc_lo
	v_lshlrev_b64 v[22:23], 3, v[4:5]
	v_add_nc_u32_e32 v4, 0xd00, v0
	v_add_co_u32 v20, vcc_lo, v1, v20
	v_add_co_ci_u32_e32 v21, vcc_lo, v2, v21, vcc_lo
	s_waitcnt lgkmcnt(1)
	s_clause 0x1
	global_store_b64 v[16:17], v[6:7], off
	global_store_b64 v[14:15], v[8:9], off
	s_waitcnt lgkmcnt(0)
	s_clause 0x1
	global_store_b64 v[18:19], v[10:11], off
	global_store_b64 v[20:21], v[12:13], off
	v_lshlrev_b64 v[14:15], 3, v[4:5]
	v_add_nc_u32_e32 v4, 0xe00, v0
	ds_load_2addr_stride64_b64 v[6:9], v24 offset0:48 offset1:52
	ds_load_2addr_stride64_b64 v[10:13], v24 offset0:56 offset1:60
	v_add_co_u32 v16, vcc_lo, v1, v22
	v_lshlrev_b64 v[18:19], 3, v[4:5]
	v_add_nc_u32_e32 v4, 0xf00, v0
	v_add_co_ci_u32_e32 v17, vcc_lo, v2, v23, vcc_lo
	v_add_co_u32 v14, vcc_lo, v1, v14
	s_delay_alu instid0(VALU_DEP_3) | instskip(SKIP_3) | instid1(VALU_DEP_4)
	v_lshlrev_b64 v[3:4], 3, v[4:5]
	v_add_co_ci_u32_e32 v15, vcc_lo, v2, v15, vcc_lo
	v_add_co_u32 v18, vcc_lo, v1, v18
	v_add_co_ci_u32_e32 v19, vcc_lo, v2, v19, vcc_lo
	v_add_co_u32 v3, vcc_lo, v1, v3
	v_add_co_ci_u32_e32 v4, vcc_lo, v2, v4, vcc_lo
	v_cmp_eq_u32_e32 vcc_lo, 0xff, v0
	s_waitcnt lgkmcnt(1)
	s_clause 0x1
	global_store_b64 v[16:17], v[6:7], off
	global_store_b64 v[14:15], v[8:9], off
	s_waitcnt lgkmcnt(0)
	s_clause 0x1
	global_store_b64 v[18:19], v[10:11], off
	global_store_b64 v[3:4], v[12:13], off
	s_and_b32 exec_lo, exec_lo, vcc_lo
	s_cbranch_execz .LBB0_20
; %bb.19:
	v_mov_b32_e32 v0, 0
	ds_load_b64 v[3:4], v0 offset:32768
	v_add_co_u32 v0, vcc_lo, 0x8000, v1
	v_add_co_ci_u32_e32 v1, vcc_lo, 0, v2, vcc_lo
	s_waitcnt lgkmcnt(0)
	global_store_b64 v[0:1], v[3:4], off
.LBB0_20:
	s_nop 0
	s_sendmsg sendmsg(MSG_DEALLOC_VGPRS)
	s_endpgm
	.section	.rodata,"a",@progbits
	.p2align	6, 0x0
	.amdhsa_kernel fft_rtc_back_len4096_factors_16_16_16_wgs_256_tpt_256_halfLds_sp_op_CI_CI_unitstride_sbrr_R2C_dirReg
		.amdhsa_group_segment_fixed_size 0
		.amdhsa_private_segment_fixed_size 0
		.amdhsa_kernarg_size 104
		.amdhsa_user_sgpr_count 15
		.amdhsa_user_sgpr_dispatch_ptr 0
		.amdhsa_user_sgpr_queue_ptr 0
		.amdhsa_user_sgpr_kernarg_segment_ptr 1
		.amdhsa_user_sgpr_dispatch_id 0
		.amdhsa_user_sgpr_private_segment_size 0
		.amdhsa_wavefront_size32 1
		.amdhsa_uses_dynamic_stack 0
		.amdhsa_enable_private_segment 0
		.amdhsa_system_sgpr_workgroup_id_x 1
		.amdhsa_system_sgpr_workgroup_id_y 0
		.amdhsa_system_sgpr_workgroup_id_z 0
		.amdhsa_system_sgpr_workgroup_info 0
		.amdhsa_system_vgpr_workitem_id 0
		.amdhsa_next_free_vgpr 87
		.amdhsa_next_free_sgpr 27
		.amdhsa_reserve_vcc 1
		.amdhsa_float_round_mode_32 0
		.amdhsa_float_round_mode_16_64 0
		.amdhsa_float_denorm_mode_32 3
		.amdhsa_float_denorm_mode_16_64 3
		.amdhsa_dx10_clamp 1
		.amdhsa_ieee_mode 1
		.amdhsa_fp16_overflow 0
		.amdhsa_workgroup_processor_mode 1
		.amdhsa_memory_ordered 1
		.amdhsa_forward_progress 0
		.amdhsa_shared_vgpr_count 0
		.amdhsa_exception_fp_ieee_invalid_op 0
		.amdhsa_exception_fp_denorm_src 0
		.amdhsa_exception_fp_ieee_div_zero 0
		.amdhsa_exception_fp_ieee_overflow 0
		.amdhsa_exception_fp_ieee_underflow 0
		.amdhsa_exception_fp_ieee_inexact 0
		.amdhsa_exception_int_div_zero 0
	.end_amdhsa_kernel
	.text
.Lfunc_end0:
	.size	fft_rtc_back_len4096_factors_16_16_16_wgs_256_tpt_256_halfLds_sp_op_CI_CI_unitstride_sbrr_R2C_dirReg, .Lfunc_end0-fft_rtc_back_len4096_factors_16_16_16_wgs_256_tpt_256_halfLds_sp_op_CI_CI_unitstride_sbrr_R2C_dirReg
                                        ; -- End function
	.section	.AMDGPU.csdata,"",@progbits
; Kernel info:
; codeLenInByte = 9564
; NumSgprs: 29
; NumVgprs: 87
; ScratchSize: 0
; MemoryBound: 0
; FloatMode: 240
; IeeeMode: 1
; LDSByteSize: 0 bytes/workgroup (compile time only)
; SGPRBlocks: 3
; VGPRBlocks: 10
; NumSGPRsForWavesPerEU: 29
; NumVGPRsForWavesPerEU: 87
; Occupancy: 16
; WaveLimiterHint : 1
; COMPUTE_PGM_RSRC2:SCRATCH_EN: 0
; COMPUTE_PGM_RSRC2:USER_SGPR: 15
; COMPUTE_PGM_RSRC2:TRAP_HANDLER: 0
; COMPUTE_PGM_RSRC2:TGID_X_EN: 1
; COMPUTE_PGM_RSRC2:TGID_Y_EN: 0
; COMPUTE_PGM_RSRC2:TGID_Z_EN: 0
; COMPUTE_PGM_RSRC2:TIDIG_COMP_CNT: 0
	.text
	.p2alignl 7, 3214868480
	.fill 96, 4, 3214868480
	.type	__hip_cuid_a2b11259291e128f,@object ; @__hip_cuid_a2b11259291e128f
	.section	.bss,"aw",@nobits
	.globl	__hip_cuid_a2b11259291e128f
__hip_cuid_a2b11259291e128f:
	.byte	0                               ; 0x0
	.size	__hip_cuid_a2b11259291e128f, 1

	.ident	"AMD clang version 19.0.0git (https://github.com/RadeonOpenCompute/llvm-project roc-6.4.0 25133 c7fe45cf4b819c5991fe208aaa96edf142730f1d)"
	.section	".note.GNU-stack","",@progbits
	.addrsig
	.addrsig_sym __hip_cuid_a2b11259291e128f
	.amdgpu_metadata
---
amdhsa.kernels:
  - .args:
      - .actual_access:  read_only
        .address_space:  global
        .offset:         0
        .size:           8
        .value_kind:     global_buffer
      - .offset:         8
        .size:           8
        .value_kind:     by_value
      - .actual_access:  read_only
        .address_space:  global
        .offset:         16
        .size:           8
        .value_kind:     global_buffer
      - .actual_access:  read_only
        .address_space:  global
        .offset:         24
        .size:           8
        .value_kind:     global_buffer
      - .actual_access:  read_only
        .address_space:  global
        .offset:         32
        .size:           8
        .value_kind:     global_buffer
      - .offset:         40
        .size:           8
        .value_kind:     by_value
      - .actual_access:  read_only
        .address_space:  global
        .offset:         48
        .size:           8
        .value_kind:     global_buffer
      - .actual_access:  read_only
        .address_space:  global
        .offset:         56
        .size:           8
        .value_kind:     global_buffer
      - .offset:         64
        .size:           4
        .value_kind:     by_value
      - .actual_access:  read_only
        .address_space:  global
        .offset:         72
        .size:           8
        .value_kind:     global_buffer
      - .actual_access:  read_only
        .address_space:  global
        .offset:         80
        .size:           8
        .value_kind:     global_buffer
      - .actual_access:  read_only
        .address_space:  global
        .offset:         88
        .size:           8
        .value_kind:     global_buffer
      - .actual_access:  write_only
        .address_space:  global
        .offset:         96
        .size:           8
        .value_kind:     global_buffer
    .group_segment_fixed_size: 0
    .kernarg_segment_align: 8
    .kernarg_segment_size: 104
    .language:       OpenCL C
    .language_version:
      - 2
      - 0
    .max_flat_workgroup_size: 256
    .name:           fft_rtc_back_len4096_factors_16_16_16_wgs_256_tpt_256_halfLds_sp_op_CI_CI_unitstride_sbrr_R2C_dirReg
    .private_segment_fixed_size: 0
    .sgpr_count:     29
    .sgpr_spill_count: 0
    .symbol:         fft_rtc_back_len4096_factors_16_16_16_wgs_256_tpt_256_halfLds_sp_op_CI_CI_unitstride_sbrr_R2C_dirReg.kd
    .uniform_work_group_size: 1
    .uses_dynamic_stack: false
    .vgpr_count:     87
    .vgpr_spill_count: 0
    .wavefront_size: 32
    .workgroup_processor_mode: 1
amdhsa.target:   amdgcn-amd-amdhsa--gfx1100
amdhsa.version:
  - 1
  - 2
...

	.end_amdgpu_metadata
